;; amdgpu-corpus repo=ROCm/rocFFT kind=compiled arch=gfx1030 opt=O3
	.text
	.amdgcn_target "amdgcn-amd-amdhsa--gfx1030"
	.amdhsa_code_object_version 6
	.protected	fft_rtc_fwd_len216_factors_6_6_6_wgs_324_tpt_36_dp_ip_CI_sbcc_twdbase6_3step_dirReg ; -- Begin function fft_rtc_fwd_len216_factors_6_6_6_wgs_324_tpt_36_dp_ip_CI_sbcc_twdbase6_3step_dirReg
	.globl	fft_rtc_fwd_len216_factors_6_6_6_wgs_324_tpt_36_dp_ip_CI_sbcc_twdbase6_3step_dirReg
	.p2align	8
	.type	fft_rtc_fwd_len216_factors_6_6_6_wgs_324_tpt_36_dp_ip_CI_sbcc_twdbase6_3step_dirReg,@function
fft_rtc_fwd_len216_factors_6_6_6_wgs_324_tpt_36_dp_ip_CI_sbcc_twdbase6_3step_dirReg: ; @fft_rtc_fwd_len216_factors_6_6_6_wgs_324_tpt_36_dp_ip_CI_sbcc_twdbase6_3step_dirReg
; %bb.0:
	s_load_dwordx8 s[8:15], s[4:5], 0x8
	s_mov_b32 s0, exec_lo
	v_cmpx_gt_u32_e32 0xc0, v0
	s_cbranch_execz .LBB0_2
; %bb.1:
	v_lshlrev_b32_e32 v5, 4, v0
	s_waitcnt lgkmcnt(0)
	global_load_dwordx4 v[1:4], v5, s[8:9]
	v_add3_u32 v5, 0, v5, 0x7980
	s_waitcnt vmcnt(0)
	ds_write2_b64 v5, v[1:2], v[3:4] offset1:1
.LBB0_2:
	s_or_b32 exec_lo, exec_lo, s0
	s_waitcnt lgkmcnt(0)
	s_load_dwordx2 s[16:17], s[12:13], 0x8
	s_waitcnt lgkmcnt(0)
	s_add_u32 s0, s16, -1
	s_addc_u32 s1, s17, -1
	s_add_u32 s2, 0, 0x71c4fc00
	s_addc_u32 s3, 0, 0x7c
	s_mul_hi_u32 s8, s2, -9
	s_add_i32 s3, s3, 0x1c71c6a0
	s_sub_i32 s8, s8, s2
	s_mul_i32 s18, s3, -9
	s_mul_i32 s7, s2, -9
	s_add_i32 s8, s8, s18
	s_mul_hi_u32 s9, s2, s7
	s_mul_i32 s20, s2, s8
	s_mul_hi_u32 s18, s2, s8
	s_mul_hi_u32 s19, s3, s7
	s_mul_i32 s7, s3, s7
	s_add_u32 s9, s9, s20
	s_addc_u32 s18, 0, s18
	s_mul_hi_u32 s21, s3, s8
	s_add_u32 s7, s9, s7
	s_mul_i32 s8, s3, s8
	s_addc_u32 s7, s18, s19
	s_addc_u32 s9, s21, 0
	s_add_u32 s7, s7, s8
	v_add_co_u32 v1, s2, s2, s7
	s_addc_u32 s7, 0, s9
	s_cmp_lg_u32 s2, 0
	s_addc_u32 s2, s3, s7
	v_readfirstlane_b32 s3, v1
	s_mul_i32 s8, s0, s2
	s_mul_hi_u32 s7, s0, s2
	s_mul_hi_u32 s9, s1, s2
	s_mul_i32 s2, s1, s2
	s_mul_hi_u32 s18, s0, s3
	s_mul_hi_u32 s19, s1, s3
	s_mul_i32 s3, s1, s3
	s_add_u32 s8, s18, s8
	s_addc_u32 s7, 0, s7
	s_add_u32 s3, s8, s3
	s_addc_u32 s3, s7, s19
	s_addc_u32 s7, s9, 0
	s_add_u32 s2, s3, s2
	s_addc_u32 s3, 0, s7
	s_mul_i32 s8, s2, 9
	s_add_u32 s7, s2, 1
	v_sub_co_u32 v1, s0, s0, s8
	s_mul_hi_u32 s8, s2, 9
	s_addc_u32 s9, s3, 0
	s_mul_i32 s18, s3, 9
	v_sub_co_u32 v2, s19, v1, 9
	s_add_u32 s20, s2, 2
	s_addc_u32 s21, s3, 0
	s_add_i32 s8, s8, s18
	s_cmp_lg_u32 s0, 0
	v_readfirstlane_b32 s0, v2
	s_subb_u32 s1, s1, s8
	s_cmp_lg_u32 s19, 0
	s_subb_u32 s8, s1, 0
	s_cmp_gt_u32 s0, 8
	s_cselect_b32 s0, -1, 0
	s_cmp_eq_u32 s8, 0
	v_readfirstlane_b32 s8, v1
	s_cselect_b32 s0, s0, -1
	s_cmp_lg_u32 s0, 0
	s_cselect_b32 s0, s20, s7
	s_cselect_b32 s9, s21, s9
	s_cmp_gt_u32 s8, 8
	s_mov_b64 s[20:21], 0
	s_cselect_b32 s7, -1, 0
	s_cmp_eq_u32 s1, 0
	s_cselect_b32 s1, s7, -1
	s_mov_b32 s7, 0
	s_cmp_lg_u32 s1, 0
	s_cselect_b32 s0, s0, s2
	s_cselect_b32 s1, s9, s3
	s_add_u32 s18, s0, 1
	s_addc_u32 s19, s1, 0
	v_cmp_lt_u64_e64 s0, s[6:7], s[18:19]
	s_and_b32 vcc_lo, exec_lo, s0
	s_cbranch_vccnz .LBB0_4
; %bb.3:
	v_cvt_f32_u32_e32 v1, s18
	s_sub_i32 s1, 0, s18
	s_mov_b32 s21, s7
	v_rcp_iflag_f32_e32 v1, v1
	v_mul_f32_e32 v1, 0x4f7ffffe, v1
	v_cvt_u32_f32_e32 v1, v1
	v_readfirstlane_b32 s0, v1
	s_mul_i32 s1, s1, s0
	s_mul_hi_u32 s1, s0, s1
	s_add_i32 s0, s0, s1
	s_mul_hi_u32 s0, s6, s0
	s_mul_i32 s1, s0, s18
	s_add_i32 s2, s0, 1
	s_sub_i32 s1, s6, s1
	s_sub_i32 s3, s1, s18
	s_cmp_ge_u32 s1, s18
	s_cselect_b32 s0, s2, s0
	s_cselect_b32 s1, s3, s1
	s_add_i32 s2, s0, 1
	s_cmp_ge_u32 s1, s18
	s_cselect_b32 s20, s2, s0
.LBB0_4:
	s_load_dwordx4 s[0:3], s[14:15], 0x0
	s_clause 0x1
	s_load_dwordx2 s[8:9], s[4:5], 0x58
	s_load_dwordx2 s[4:5], s[4:5], 0x0
	s_mul_i32 s22, s20, s19
	s_mul_hi_u32 s23, s20, s18
	s_mul_i32 s24, s20, s18
	s_add_i32 s23, s23, s22
	s_sub_u32 s34, s6, s24
	s_subb_u32 s22, 0, s23
	s_mul_hi_u32 s33, s34, 9
	s_mul_i32 s22, s22, 9
	v_cmp_lt_u64_e64 s25, s[10:11], 3
	s_mul_i32 s34, s34, 9
	s_add_i32 s33, s33, s22
	s_and_b32 vcc_lo, exec_lo, s25
	s_waitcnt lgkmcnt(0)
	s_mul_i32 s22, s2, s33
	s_mul_hi_u32 s23, s2, s34
	s_mul_i32 s24, s3, s34
	s_add_i32 s22, s23, s22
	s_mul_i32 s35, s2, s34
	s_add_i32 s36, s22, s24
	s_cbranch_vccnz .LBB0_14
; %bb.5:
	s_add_u32 s22, s14, 16
	s_addc_u32 s23, s15, 0
	s_add_u32 s12, s12, 16
	s_addc_u32 s13, s13, 0
	s_mov_b64 s[24:25], 2
	s_mov_b32 s26, 0
.LBB0_6:                                ; =>This Inner Loop Header: Depth=1
	s_load_dwordx2 s[28:29], s[12:13], 0x0
	s_waitcnt lgkmcnt(0)
	s_or_b64 s[30:31], s[20:21], s[28:29]
	s_mov_b32 s27, s31
                                        ; implicit-def: $sgpr30_sgpr31
	s_cmp_lg_u64 s[26:27], 0
	s_mov_b32 s27, -1
	s_cbranch_scc0 .LBB0_8
; %bb.7:                                ;   in Loop: Header=BB0_6 Depth=1
	v_cvt_f32_u32_e32 v1, s28
	v_cvt_f32_u32_e32 v2, s29
	s_sub_u32 s31, 0, s28
	s_subb_u32 s37, 0, s29
	v_fmac_f32_e32 v1, 0x4f800000, v2
	v_rcp_f32_e32 v1, v1
	v_mul_f32_e32 v1, 0x5f7ffffc, v1
	v_mul_f32_e32 v2, 0x2f800000, v1
	v_trunc_f32_e32 v2, v2
	v_fmac_f32_e32 v1, 0xcf800000, v2
	v_cvt_u32_f32_e32 v2, v2
	v_cvt_u32_f32_e32 v1, v1
	v_readfirstlane_b32 s27, v2
	v_readfirstlane_b32 s30, v1
	s_mul_i32 s38, s31, s27
	s_mul_hi_u32 s40, s31, s30
	s_mul_i32 s39, s37, s30
	s_add_i32 s38, s40, s38
	s_mul_i32 s41, s31, s30
	s_add_i32 s38, s38, s39
	s_mul_hi_u32 s40, s30, s41
	s_mul_hi_u32 s42, s27, s41
	s_mul_i32 s39, s27, s41
	s_mul_hi_u32 s41, s30, s38
	s_mul_i32 s30, s30, s38
	s_mul_hi_u32 s43, s27, s38
	s_add_u32 s30, s40, s30
	s_addc_u32 s40, 0, s41
	s_add_u32 s30, s30, s39
	s_mul_i32 s38, s27, s38
	s_addc_u32 s30, s40, s42
	s_addc_u32 s39, s43, 0
	s_add_u32 s30, s30, s38
	s_addc_u32 s38, 0, s39
	v_add_co_u32 v1, s30, v1, s30
	s_cmp_lg_u32 s30, 0
	s_addc_u32 s27, s27, s38
	v_readfirstlane_b32 s30, v1
	s_mul_i32 s38, s31, s27
	s_mul_hi_u32 s39, s31, s30
	s_mul_i32 s37, s37, s30
	s_add_i32 s38, s39, s38
	s_mul_i32 s31, s31, s30
	s_add_i32 s38, s38, s37
	s_mul_hi_u32 s39, s27, s31
	s_mul_i32 s40, s27, s31
	s_mul_hi_u32 s31, s30, s31
	s_mul_hi_u32 s41, s30, s38
	s_mul_i32 s30, s30, s38
	s_mul_hi_u32 s37, s27, s38
	s_add_u32 s30, s31, s30
	s_addc_u32 s31, 0, s41
	s_add_u32 s30, s30, s40
	s_mul_i32 s38, s27, s38
	s_addc_u32 s30, s31, s39
	s_addc_u32 s31, s37, 0
	s_add_u32 s30, s30, s38
	s_addc_u32 s31, 0, s31
	v_add_co_u32 v1, s30, v1, s30
	s_cmp_lg_u32 s30, 0
	s_addc_u32 s27, s27, s31
	v_readfirstlane_b32 s30, v1
	s_mul_i32 s37, s20, s27
	s_mul_hi_u32 s31, s20, s27
	s_mul_hi_u32 s38, s21, s27
	s_mul_i32 s27, s21, s27
	s_mul_hi_u32 s39, s20, s30
	s_mul_hi_u32 s40, s21, s30
	s_mul_i32 s30, s21, s30
	s_add_u32 s37, s39, s37
	s_addc_u32 s31, 0, s31
	s_add_u32 s30, s37, s30
	s_addc_u32 s30, s31, s40
	s_addc_u32 s31, s38, 0
	s_add_u32 s30, s30, s27
	s_addc_u32 s31, 0, s31
	s_mul_hi_u32 s27, s28, s30
	s_mul_i32 s38, s28, s31
	s_mul_i32 s39, s28, s30
	s_add_i32 s27, s27, s38
	v_sub_co_u32 v1, s38, s20, s39
	s_mul_i32 s37, s29, s30
	s_add_i32 s27, s27, s37
	v_sub_co_u32 v2, s39, v1, s28
	s_sub_i32 s37, s21, s27
	s_cmp_lg_u32 s38, 0
	s_subb_u32 s37, s37, s29
	s_cmp_lg_u32 s39, 0
	v_readfirstlane_b32 s39, v2
	s_subb_u32 s37, s37, 0
	s_cmp_ge_u32 s37, s29
	s_cselect_b32 s40, -1, 0
	s_cmp_ge_u32 s39, s28
	s_cselect_b32 s39, -1, 0
	s_cmp_eq_u32 s37, s29
	s_cselect_b32 s37, s39, s40
	s_add_u32 s39, s30, 1
	s_addc_u32 s40, s31, 0
	s_add_u32 s41, s30, 2
	s_addc_u32 s42, s31, 0
	s_cmp_lg_u32 s37, 0
	s_cselect_b32 s37, s41, s39
	s_cselect_b32 s39, s42, s40
	s_cmp_lg_u32 s38, 0
	v_readfirstlane_b32 s38, v1
	s_subb_u32 s27, s21, s27
	s_cmp_ge_u32 s27, s29
	s_cselect_b32 s40, -1, 0
	s_cmp_ge_u32 s38, s28
	s_cselect_b32 s38, -1, 0
	s_cmp_eq_u32 s27, s29
	s_cselect_b32 s27, s38, s40
	s_cmp_lg_u32 s27, 0
	s_mov_b32 s27, 0
	s_cselect_b32 s31, s39, s31
	s_cselect_b32 s30, s37, s30
.LBB0_8:                                ;   in Loop: Header=BB0_6 Depth=1
	s_andn2_b32 vcc_lo, exec_lo, s27
	s_cbranch_vccnz .LBB0_10
; %bb.9:                                ;   in Loop: Header=BB0_6 Depth=1
	v_cvt_f32_u32_e32 v1, s28
	s_sub_i32 s30, 0, s28
	v_rcp_iflag_f32_e32 v1, v1
	v_mul_f32_e32 v1, 0x4f7ffffe, v1
	v_cvt_u32_f32_e32 v1, v1
	v_readfirstlane_b32 s27, v1
	s_mul_i32 s30, s30, s27
	s_mul_hi_u32 s30, s27, s30
	s_add_i32 s27, s27, s30
	s_mul_hi_u32 s27, s20, s27
	s_mul_i32 s30, s27, s28
	s_add_i32 s31, s27, 1
	s_sub_i32 s30, s20, s30
	s_sub_i32 s37, s30, s28
	s_cmp_ge_u32 s30, s28
	s_cselect_b32 s27, s31, s27
	s_cselect_b32 s30, s37, s30
	s_add_i32 s31, s27, 1
	s_cmp_ge_u32 s30, s28
	s_cselect_b32 s30, s31, s27
	s_mov_b32 s31, s26
.LBB0_10:                               ;   in Loop: Header=BB0_6 Depth=1
	s_load_dwordx2 s[38:39], s[22:23], 0x0
	s_mul_i32 s19, s28, s19
	s_mul_hi_u32 s27, s28, s18
	s_mul_i32 s37, s29, s18
	s_mul_i32 s29, s30, s29
	s_mul_hi_u32 s40, s30, s28
	s_mul_i32 s41, s31, s28
	s_add_i32 s19, s27, s19
	s_add_i32 s27, s40, s29
	s_mul_i32 s42, s30, s28
	s_add_i32 s19, s19, s37
	s_add_i32 s27, s27, s41
	s_sub_u32 s20, s20, s42
	s_subb_u32 s21, s21, s27
	s_mul_i32 s18, s28, s18
	s_waitcnt lgkmcnt(0)
	s_mul_i32 s21, s38, s21
	s_mul_hi_u32 s27, s38, s20
	s_add_i32 s21, s27, s21
	s_mul_i32 s27, s39, s20
	s_mul_i32 s20, s38, s20
	s_add_i32 s21, s21, s27
	s_add_u32 s35, s20, s35
	s_addc_u32 s36, s21, s36
	s_add_u32 s24, s24, 1
	s_addc_u32 s25, s25, 0
	s_add_u32 s22, s22, 8
	v_cmp_ge_u64_e64 s20, s[24:25], s[10:11]
	s_addc_u32 s23, s23, 0
	s_add_u32 s12, s12, 8
	s_addc_u32 s13, s13, 0
	s_and_b32 vcc_lo, exec_lo, s20
	s_cbranch_vccnz .LBB0_12
; %bb.11:                               ;   in Loop: Header=BB0_6 Depth=1
	s_mov_b64 s[20:21], s[30:31]
	s_branch .LBB0_6
.LBB0_12:
	v_cmp_lt_u64_e64 s7, s[6:7], s[18:19]
	s_mov_b64 s[20:21], 0
	s_and_b32 vcc_lo, exec_lo, s7
	s_cbranch_vccnz .LBB0_14
; %bb.13:
	v_cvt_f32_u32_e32 v1, s18
	s_sub_i32 s12, 0, s18
	v_rcp_iflag_f32_e32 v1, v1
	v_mul_f32_e32 v1, 0x4f7ffffe, v1
	v_cvt_u32_f32_e32 v1, v1
	v_readfirstlane_b32 s7, v1
	s_mul_i32 s12, s12, s7
	s_mul_hi_u32 s12, s7, s12
	s_add_i32 s7, s7, s12
	s_mul_hi_u32 s7, s6, s7
	s_mul_i32 s12, s7, s18
	s_sub_i32 s6, s6, s12
	s_add_i32 s12, s7, 1
	s_sub_i32 s13, s6, s18
	s_cmp_ge_u32 s6, s18
	s_cselect_b32 s7, s12, s7
	s_cselect_b32 s6, s13, s6
	s_add_i32 s12, s7, 1
	s_cmp_ge_u32 s6, s18
	s_cselect_b32 s20, s12, s7
.LBB0_14:
	s_lshl_b64 s[6:7], s[10:11], 3
	v_mul_hi_u32 v28, 0x1c71c71d, v0
	s_add_u32 s6, s14, s6
	s_addc_u32 s7, s15, s7
                                        ; implicit-def: $vgpr3_vgpr4
                                        ; implicit-def: $vgpr7_vgpr8
                                        ; implicit-def: $vgpr19_vgpr20
                                        ; implicit-def: $vgpr11_vgpr12
                                        ; implicit-def: $vgpr23_vgpr24
                                        ; implicit-def: $vgpr15_vgpr16
	s_load_dwordx2 s[6:7], s[6:7], 0x0
	v_mul_u32_u24_e32 v1, 9, v28
	v_sub_nc_u32_e32 v27, v0, v1
	v_add_co_u32 v25, s10, s34, v27
	v_add_co_ci_u32_e64 v26, null, s33, 0, s10
	s_waitcnt lgkmcnt(0)
	s_mul_i32 s7, s7, s20
	s_mul_hi_u32 s10, s6, s20
	s_mul_i32 s6, s6, s20
	s_add_i32 s10, s10, s7
	s_add_u32 s6, s6, s35
	s_addc_u32 s7, s10, s36
	s_add_u32 s10, s34, 9
	s_addc_u32 s11, s33, 0
	v_cmp_gt_u64_e32 vcc_lo, s[16:17], v[25:26]
	v_cmp_le_u64_e64 s10, s[10:11], s[16:17]
	s_or_b32 s14, s10, vcc_lo
	s_and_saveexec_b32 s10, s14
	s_cbranch_execz .LBB0_16
; %bb.15:
	v_mad_u64_u32 v[1:2], null, s2, v27, 0
	v_mad_u64_u32 v[3:4], null, s0, v28, 0
	v_add_nc_u32_e32 v12, 36, v28
	v_add_nc_u32_e32 v14, 0x48, v28
	;; [unrolled: 1-line block ×3, first 2 shown]
	s_lshl_b64 s[12:13], s[6:7], 4
	v_add_nc_u32_e32 v16, 0x90, v28
	s_add_u32 s11, s8, s12
	v_mad_u64_u32 v[5:6], null, s3, v27, v[2:3]
	v_mad_u64_u32 v[6:7], null, s0, v12, 0
	;; [unrolled: 1-line block ×4, first 2 shown]
	v_mov_b32_e32 v2, v5
	v_mad_u64_u32 v[4:5], null, s1, v28, v[4:5]
	v_mov_b32_e32 v5, v7
	s_addc_u32 s12, s9, s13
	v_lshlrev_b64 v[1:2], 4, v[1:2]
	v_add_nc_u32_e32 v17, 0xb4, v28
	v_mad_u64_u32 v[12:13], null, s1, v12, v[5:6]
	v_mov_b32_e32 v5, v9
	v_add_co_u32 v19, vcc_lo, s11, v1
	v_add_co_ci_u32_e32 v20, vcc_lo, s12, v2, vcc_lo
	v_lshlrev_b64 v[1:2], 4, v[3:4]
	v_mad_u64_u32 v[3:4], null, s1, v14, v[5:6]
	v_mov_b32_e32 v7, v12
	v_mov_b32_e32 v4, v11
	v_mad_u64_u32 v[12:13], null, s0, v16, 0
	v_add_co_u32 v1, vcc_lo, v19, v1
	v_mad_u64_u32 v[4:5], null, s1, v15, v[4:5]
	v_lshlrev_b64 v[6:7], 4, v[6:7]
	v_mad_u64_u32 v[14:15], null, s0, v17, 0
	v_mov_b32_e32 v5, v13
	v_mov_b32_e32 v9, v3
	v_add_co_ci_u32_e32 v2, vcc_lo, v20, v2, vcc_lo
	v_mov_b32_e32 v11, v4
	v_mad_u64_u32 v[3:4], null, s1, v16, v[5:6]
	v_mov_b32_e32 v4, v15
	v_add_co_u32 v5, vcc_lo, v19, v6
	v_add_co_ci_u32_e32 v6, vcc_lo, v20, v7, vcc_lo
	v_lshlrev_b64 v[7:8], 4, v[8:9]
	v_mad_u64_u32 v[15:16], null, s1, v17, v[4:5]
	v_lshlrev_b64 v[9:10], 4, v[10:11]
	v_mov_b32_e32 v13, v3
	v_add_co_u32 v3, vcc_lo, v19, v7
	v_add_co_ci_u32_e32 v4, vcc_lo, v20, v8, vcc_lo
	v_lshlrev_b64 v[7:8], 4, v[12:13]
	v_add_co_u32 v17, vcc_lo, v19, v9
	v_add_co_ci_u32_e32 v18, vcc_lo, v20, v10, vcc_lo
	v_lshlrev_b64 v[9:10], 4, v[14:15]
	v_add_co_u32 v7, vcc_lo, v19, v7
	v_add_co_ci_u32_e32 v8, vcc_lo, v20, v8, vcc_lo
	v_add_co_u32 v29, vcc_lo, v19, v9
	v_add_co_ci_u32_e32 v30, vcc_lo, v20, v10, vcc_lo
	s_clause 0x5
	global_load_dwordx4 v[13:16], v[1:2], off
	global_load_dwordx4 v[21:24], v[5:6], off
	;; [unrolled: 1-line block ×6, first 2 shown]
.LBB0_16:
	s_or_b32 exec_lo, exec_lo, s10
	s_waitcnt vmcnt(0)
	v_add_f64 v[29:30], v[1:2], v[17:18]
	v_add_f64 v[31:32], v[3:4], v[19:20]
	v_add_f64 v[33:34], v[19:20], -v[3:4]
	v_add_f64 v[35:36], v[17:18], -v[1:2]
	s_mov_b32 s10, 0xe8584caa
	s_mov_b32 s11, 0x3febb67a
	;; [unrolled: 1-line block ×4, first 2 shown]
	v_add_f64 v[37:38], v[5:6], v[9:10]
	v_add_f64 v[39:40], v[7:8], v[11:12]
	;; [unrolled: 1-line block ×3, first 2 shown]
	v_add_f64 v[45:46], v[11:12], -v[7:8]
	v_add_f64 v[11:12], v[11:12], v[15:16]
	v_add_f64 v[17:18], v[17:18], v[21:22]
	;; [unrolled: 1-line block ×3, first 2 shown]
	v_add_f64 v[9:10], v[9:10], -v[5:6]
	v_mul_hi_u32 v26, 0x2aaaaaab, v28
	v_lshlrev_b32_e32 v53, 4, v27
	v_fma_f64 v[29:30], v[29:30], -0.5, v[21:22]
	v_fma_f64 v[31:32], v[31:32], -0.5, v[23:24]
	v_mul_u32_u24_e32 v26, 6, v26
	v_sub_nc_u32_e32 v26, v28, v26
	v_fma_f64 v[13:14], v[37:38], -0.5, v[13:14]
	v_fma_f64 v[15:16], v[39:40], -0.5, v[15:16]
	v_add_f64 v[5:6], v[5:6], v[43:44]
	v_add_f64 v[7:8], v[7:8], v[11:12]
	v_add_f64 v[11:12], v[1:2], v[17:18]
	v_add_f64 v[17:18], v[3:4], v[19:20]
	v_fma_f64 v[41:42], v[33:34], s[10:11], v[29:30]
	v_fma_f64 v[29:30], v[33:34], s[12:13], v[29:30]
	;; [unrolled: 1-line block ×7, first 2 shown]
	v_add_f64 v[1:2], v[11:12], v[5:6]
	v_add_f64 v[3:4], v[17:18], v[7:8]
	v_add_f64 v[5:6], v[5:6], -v[11:12]
	v_add_f64 v[7:8], v[7:8], -v[17:18]
	v_mul_f64 v[23:24], v[41:42], 0.5
	v_mul_f64 v[31:32], v[29:30], -0.5
	v_mul_f64 v[35:36], v[41:42], s[12:13]
	v_mul_f64 v[37:38], v[33:34], -0.5
	v_fma_f64 v[41:42], v[9:10], s[12:13], v[15:16]
	v_fma_f64 v[23:24], v[21:22], s[10:11], v[23:24]
	;; [unrolled: 1-line block ×3, first 2 shown]
	v_fma_f64 v[33:34], v[21:22], 0.5, v[35:36]
	v_fma_f64 v[29:30], v[29:30], s[12:13], v[37:38]
	v_add_f64 v[9:10], v[19:20], v[23:24]
	v_add_f64 v[13:14], v[39:40], v[31:32]
	;; [unrolled: 1-line block ×4, first 2 shown]
	v_add_f64 v[17:18], v[19:20], -v[23:24]
	v_add_f64 v[19:20], v[41:42], -v[33:34]
	;; [unrolled: 1-line block ×4, first 2 shown]
	v_mul_u32_u24_e32 v29, 0x360, v28
	v_mul_u32_u24_e32 v30, 5, v26
	v_add3_u32 v29, 0, v29, v53
	v_lshlrev_b32_e32 v30, 4, v30
	ds_write_b128 v29, v[1:4]
	ds_write_b128 v29, v[5:8] offset:432
	ds_write_b128 v29, v[9:12] offset:144
	;; [unrolled: 1-line block ×5, first 2 shown]
	s_waitcnt lgkmcnt(0)
	s_barrier
	buffer_gl0_inv
	s_clause 0x4
	global_load_dwordx4 v[1:4], v30, s[4:5] offset:32
	global_load_dwordx4 v[6:9], v30, s[4:5] offset:64
	global_load_dwordx4 v[10:13], v30, s[4:5]
	global_load_dwordx4 v[14:17], v30, s[4:5] offset:16
	global_load_dwordx4 v[18:21], v30, s[4:5] offset:48
	v_mad_i32_i24 v5, 0xfffffd30, v28, v29
	ds_read_b128 v[29:32], v5 offset:15552
	ds_read_b128 v[33:36], v5 offset:25920
	;; [unrolled: 1-line block ×5, first 2 shown]
	v_mul_hi_u32 v24, 0x4bda130, v0
	s_waitcnt vmcnt(4) lgkmcnt(4)
	v_mul_f64 v[22:23], v[31:32], v[3:4]
	v_mul_f64 v[3:4], v[29:30], v[3:4]
	s_waitcnt vmcnt(3) lgkmcnt(3)
	v_mul_f64 v[49:50], v[33:34], v[8:9]
	v_mul_f64 v[8:9], v[35:36], v[8:9]
	;; [unrolled: 3-line block ×3, first 2 shown]
	v_fma_f64 v[22:23], v[29:30], v[1:2], -v[22:23]
	v_fma_f64 v[29:30], v[31:32], v[1:2], v[3:4]
	v_fma_f64 v[31:32], v[35:36], v[6:7], v[49:50]
	v_fma_f64 v[6:7], v[33:34], v[6:7], -v[8:9]
	s_waitcnt vmcnt(1) lgkmcnt(1)
	v_mul_f64 v[1:2], v[43:44], v[16:17]
	v_mul_f64 v[3:4], v[41:42], v[16:17]
	s_waitcnt vmcnt(0) lgkmcnt(0)
	v_mul_f64 v[8:9], v[47:48], v[20:21]
	v_mul_f64 v[16:17], v[45:46], v[20:21]
	v_fma_f64 v[20:21], v[37:38], v[10:11], -v[51:52]
	v_fma_f64 v[10:11], v[39:40], v[10:11], v[12:13]
	v_add_f64 v[12:13], v[29:30], v[31:32]
	v_add_f64 v[33:34], v[22:23], v[6:7]
	v_fma_f64 v[35:36], v[41:42], v[14:15], -v[1:2]
	v_fma_f64 v[14:15], v[43:44], v[14:15], v[3:4]
	v_fma_f64 v[8:9], v[45:46], v[18:19], -v[8:9]
	v_fma_f64 v[16:17], v[47:48], v[18:19], v[16:17]
	v_add_f64 v[18:19], v[29:30], -v[31:32]
	v_add_f64 v[37:38], v[22:23], -v[6:7]
	ds_read_b128 v[1:4], v5
	s_waitcnt lgkmcnt(0)
	s_barrier
	buffer_gl0_inv
	v_fma_f64 v[12:13], v[12:13], -0.5, v[10:11]
	v_fma_f64 v[33:34], v[33:34], -0.5, v[20:21]
	v_add_f64 v[20:21], v[20:21], v[22:23]
	v_add_f64 v[10:11], v[10:11], v[29:30]
	;; [unrolled: 1-line block ×4, first 2 shown]
	v_add_f64 v[22:23], v[35:36], -v[8:9]
	v_fma_f64 v[43:44], v[37:38], s[12:13], v[12:13]
	v_fma_f64 v[45:46], v[18:19], s[12:13], v[33:34]
	;; [unrolled: 1-line block ×4, first 2 shown]
	v_add_f64 v[33:34], v[1:2], v[35:36]
	v_add_f64 v[37:38], v[14:15], -v[16:17]
	v_add_f64 v[14:15], v[3:4], v[14:15]
	v_fma_f64 v[1:2], v[39:40], -0.5, v[1:2]
	v_fma_f64 v[3:4], v[41:42], -0.5, v[3:4]
	v_add_f64 v[6:7], v[20:21], v[6:7]
	v_add_f64 v[10:11], v[10:11], v[31:32]
	v_mul_f64 v[29:30], v[43:44], s[10:11]
	v_mul_f64 v[35:36], v[45:46], -0.5
	v_mul_f64 v[39:40], v[18:19], s[12:13]
	v_mul_f64 v[41:42], v[12:13], -0.5
	v_add_f64 v[8:9], v[33:34], v[8:9]
	v_add_f64 v[14:15], v[14:15], v[16:17]
	v_fma_f64 v[20:21], v[37:38], s[10:11], v[1:2]
	v_fma_f64 v[33:34], v[22:23], s[12:13], v[3:4]
	;; [unrolled: 1-line block ×4, first 2 shown]
	v_fma_f64 v[18:19], v[18:19], 0.5, v[29:30]
	v_fma_f64 v[29:30], v[12:13], s[10:11], v[35:36]
	v_fma_f64 v[35:36], v[43:44], 0.5, v[39:40]
	v_fma_f64 v[37:38], v[45:46], s[12:13], v[41:42]
	v_add_f64 v[1:2], v[8:9], v[6:7]
	v_add_f64 v[6:7], v[8:9], -v[6:7]
	v_add_f64 v[3:4], v[14:15], v[10:11]
	v_add_f64 v[8:9], v[14:15], -v[10:11]
	v_add_f64 v[10:11], v[20:21], v[18:19]
	v_add_f64 v[14:15], v[31:32], v[29:30]
	;; [unrolled: 1-line block ×4, first 2 shown]
	v_add_f64 v[18:19], v[20:21], -v[18:19]
	v_add_f64 v[20:21], v[33:34], -v[35:36]
	;; [unrolled: 1-line block ×4, first 2 shown]
	v_mad_u32_u24 v22, v24, 36, v26
	v_mul_i32_i24_e32 v22, 0x90, v22
	v_add3_u32 v22, 0, v22, v53
	ds_write_b128 v22, v[1:4]
	ds_write_b128 v22, v[6:9] offset:2592
	ds_write_b128 v22, v[10:13] offset:864
	;; [unrolled: 1-line block ×5, first 2 shown]
	s_waitcnt lgkmcnt(0)
	s_barrier
	buffer_gl0_inv
	s_and_saveexec_b32 s15, s14
	s_cbranch_execz .LBB0_18
; %bb.17:
	v_mul_hi_u32 v1, 0x71c71c8, v28
	v_mul_lo_u32 v24, 0xffffffdc, v25
	s_add_i32 s14, 0, 0x7980
	v_mul_hi_u32_u24_e32 v0, 0xca4588, v0
	v_mul_u32_u24_e32 v1, 36, v1
	v_sub_nc_u32_e32 v6, v28, v1
	v_mul_u32_u24_e32 v1, 5, v6
	v_add_nc_u32_e32 v8, 0xb4, v6
	v_mul_lo_u32 v26, v6, v25
	v_lshlrev_b32_e32 v7, 4, v1
	v_mul_lo_u32 v8, v8, v25
	v_lshrrev_b32_e32 v9, 2, v26
	global_load_dwordx4 v[1:4], v7, s[4:5] offset:496
	v_and_b32_e32 v10, 63, v26
	v_lshrrev_b32_e32 v26, 8, v26
	v_add_nc_u32_e32 v13, v8, v24
	v_lshrrev_b32_e32 v11, 2, v8
	v_and_b32_e32 v12, 63, v8
	v_lshrrev_b32_e32 v8, 8, v8
	v_and_b32_e32 v9, 0x3f0, v9
	;; [unrolled: 2-line block ×3, first 2 shown]
	v_and_b32_e32 v21, 63, v13
	v_add_nc_u32_e32 v25, v13, v24
	v_lshl_add_u32 v10, v10, 4, 0
	v_and_b32_e32 v20, 0x3f0, v20
	v_lshl_add_u32 v17, v12, 4, 0
	v_and_b32_e32 v22, 0x3f0, v8
	v_lshrrev_b32_e32 v23, 8, v13
	v_add_nc_u32_e32 v28, s14, v16
	v_lshl_add_u32 v29, v21, 4, 0
	v_lshrrev_b32_e32 v30, 2, v25
	v_add_nc_u32_e32 v14, s14, v9
	v_add_nc_u32_e32 v32, s14, v20
	ds_read_b128 v[8:11], v10 offset:31104
	ds_read_b128 v[12:15], v14 offset:1024
	;; [unrolled: 1-line block ×3, first 2 shown]
	v_add_nc_u32_e32 v37, s14, v22
	v_and_b32_e32 v41, 0x3f0, v23
	ds_read_b128 v[20:23], v28 offset:1024
	v_and_b32_e32 v42, 0x3f0, v30
	ds_read_b128 v[28:31], v29 offset:31104
	ds_read_b128 v[32:35], v32 offset:1024
	v_add_nc_u32_e32 v40, v25, v24
	v_and_b32_e32 v36, 63, v25
	v_lshrrev_b32_e32 v25, 8, v25
	v_and_b32_e32 v26, 0x3f0, v26
	v_lshrrev_b32_e32 v44, 2, v40
	v_and_b32_e32 v52, 63, v40
	v_lshl_add_u32 v43, v36, 4, 0
	v_add_nc_u32_e32 v70, v40, v24
	v_add_nc_u32_e32 v24, s14, v41
	v_and_b32_e32 v53, 0x3f0, v44
	v_and_b32_e32 v64, 0x3f0, v25
	v_add_nc_u32_e32 v25, s14, v42
	s_waitcnt lgkmcnt(4)
	v_mul_f64 v[56:57], v[10:11], v[14:15]
	v_mul_f64 v[14:15], v[8:9], v[14:15]
	ds_read_b128 v[36:39], v37 offset:2048
	v_lshrrev_b32_e32 v65, 8, v40
	ds_read_b128 v[40:43], v43 offset:31104
	s_waitcnt lgkmcnt(4)
	v_mul_f64 v[58:59], v[18:19], v[22:23]
	v_mul_f64 v[60:61], v[16:17], v[22:23]
	s_waitcnt lgkmcnt(2)
	v_mul_f64 v[62:63], v[30:31], v[34:35]
	v_mul_f64 v[34:35], v[28:29], v[34:35]
	v_lshl_add_u32 v22, v52, 4, 0
	v_add_nc_u32_e32 v52, s14, v53
	ds_read_b128 v[44:47], v24 offset:2048
	ds_read_b128 v[48:51], v25 offset:1024
	v_and_b32_e32 v67, 63, v70
	ds_read_b128 v[22:25], v22 offset:31104
	ds_read_b128 v[52:55], v52 offset:1024
	v_and_b32_e32 v65, 0x3f0, v65
	v_add_nc_u32_e32 v68, s14, v64
	v_lshl_add_u32 v69, v67, 4, 0
	v_lshrrev_b32_e32 v66, 2, v70
	v_add_nc_u32_e32 v26, s14, v26
	v_add_nc_u32_e32 v67, s14, v65
	v_fma_f64 v[56:57], v[8:9], v[12:13], -v[56:57]
	v_fma_f64 v[64:65], v[10:11], v[12:13], v[14:15]
	ds_read_b128 v[8:11], v68 offset:2048
	v_and_b32_e32 v66, 0x3f0, v66
	ds_read_b128 v[12:15], v67 offset:2048
	v_fma_f64 v[58:59], v[16:17], v[20:21], -v[58:59]
	v_fma_f64 v[60:61], v[18:19], v[20:21], v[60:61]
	ds_read_b128 v[16:19], v69 offset:31104
	v_fma_f64 v[62:63], v[28:29], v[32:33], -v[62:63]
	v_fma_f64 v[68:69], v[30:31], v[32:33], v[34:35]
	v_lshrrev_b32_e32 v32, 8, v70
	v_add_nc_u32_e32 v71, s14, v66
	s_waitcnt lgkmcnt(5)
	v_mul_f64 v[20:21], v[40:41], v[50:51]
	v_and_b32_e32 v32, 0x3f0, v32
	ds_read_b128 v[28:31], v71 offset:1024
	v_add_nc_u32_e32 v72, s14, v32
	ds_read_b128 v[32:35], v26 offset:2048
	v_mul_f64 v[66:67], v[42:43], v[50:51]
	s_waitcnt lgkmcnt(5)
	v_mul_f64 v[50:51], v[24:25], v[54:55]
	v_mul_f64 v[54:55], v[22:23], v[54:55]
	v_fma_f64 v[70:71], v[42:43], v[48:49], v[20:21]
	v_fma_f64 v[66:67], v[40:41], v[48:49], -v[66:67]
	ds_read_b128 v[40:43], v72 offset:2048
	s_waitcnt lgkmcnt(2)
	v_mul_f64 v[72:73], v[18:19], v[30:31]
	v_mul_f64 v[30:31], v[16:17], v[30:31]
	v_fma_f64 v[74:75], v[22:23], v[52:53], -v[50:51]
	ds_read_b128 v[20:23], v5 offset:10368
	ds_read_b128 v[48:51], v5 offset:15552
	v_fma_f64 v[24:25], v[24:25], v[52:53], v[54:55]
	v_fma_f64 v[72:73], v[16:17], v[28:29], -v[72:73]
	v_fma_f64 v[76:77], v[18:19], v[28:29], v[30:31]
	global_load_dwordx4 v[16:19], v7, s[4:5] offset:480
	s_waitcnt vmcnt(1) lgkmcnt(1)
	v_mul_f64 v[28:29], v[22:23], v[3:4]
	v_mul_f64 v[3:4], v[20:21], v[3:4]
	v_fma_f64 v[78:79], v[20:21], v[1:2], -v[28:29]
	v_fma_f64 v[80:81], v[22:23], v[1:2], v[3:4]
	s_clause 0x1
	global_load_dwordx4 v[1:4], v7, s[4:5] offset:528
	global_load_dwordx4 v[20:23], v7, s[4:5] offset:512
	ds_read_b128 v[28:31], v5 offset:20736
	ds_read_b128 v[52:55], v5 offset:25920
	s_waitcnt vmcnt(1) lgkmcnt(1)
	v_mul_f64 v[82:83], v[30:31], v[3:4]
	v_mul_f64 v[3:4], v[28:29], v[3:4]
	v_fma_f64 v[82:83], v[28:29], v[1:2], -v[82:83]
	v_fma_f64 v[28:29], v[30:31], v[1:2], v[3:4]
	s_waitcnt vmcnt(0)
	v_mul_f64 v[1:2], v[50:51], v[22:23]
	v_fma_f64 v[30:31], v[48:49], v[20:21], -v[1:2]
	v_mul_f64 v[1:2], v[48:49], v[22:23]
	v_mul_f64 v[22:23], v[62:63], v[46:47]
	v_fma_f64 v[48:49], v[50:51], v[20:21], v[1:2]
	global_load_dwordx4 v[1:4], v7, s[4:5] offset:544
	s_waitcnt vmcnt(0) lgkmcnt(0)
	v_mul_f64 v[20:21], v[54:55], v[3:4]
	v_mul_f64 v[3:4], v[52:53], v[3:4]
	v_fma_f64 v[50:51], v[52:53], v[1:2], -v[20:21]
	v_fma_f64 v[52:53], v[54:55], v[1:2], v[3:4]
	v_mul_f64 v[1:2], v[64:65], v[34:35]
	v_mul_f64 v[3:4], v[56:57], v[34:35]
	;; [unrolled: 1-line block ×3, first 2 shown]
	v_mad_u64_u32 v[46:47], null, s2, v27, 0
	v_mov_b32_e32 v7, v47
	v_mad_u64_u32 v[26:27], null, s3, v27, v[7:8]
	s_lshl_b64 s[2:3], s[6:7], 4
	s_add_u32 s2, s8, s2
	s_addc_u32 s3, s9, s3
	v_fma_f64 v[34:35], v[32:33], v[56:57], -v[1:2]
	v_mul_f64 v[1:2], v[60:61], v[38:39]
	v_fma_f64 v[32:33], v[32:33], v[64:65], v[3:4]
	v_mul_f64 v[3:4], v[58:59], v[38:39]
	v_mul_f64 v[56:57], v[70:71], v[10:11]
	v_fma_f64 v[54:55], v[44:45], v[62:63], -v[20:21]
	v_fma_f64 v[44:45], v[44:45], v[68:69], v[22:23]
	v_mul_f64 v[10:11], v[66:67], v[10:11]
	v_mad_u32_u24 v68, 0xd8, v0, v6
	v_mov_b32_e32 v47, v26
	v_add_f64 v[64:65], v[78:79], -v[82:83]
	ds_read_b128 v[20:23], v5
	v_mad_u64_u32 v[26:27], null, s0, v68, 0
	v_add_nc_u32_e32 v62, 36, v68
	v_lshlrev_b64 v[46:47], 4, v[46:47]
	v_add_co_u32 v84, vcc_lo, s2, v46
	v_fma_f64 v[38:39], v[36:37], v[58:59], -v[1:2]
	v_fma_f64 v[36:37], v[36:37], v[60:61], v[3:4]
	ds_read_b128 v[1:4], v5 offset:5184
	v_fma_f64 v[5:6], v[8:9], v[66:67], -v[56:57]
	v_add_f64 v[56:57], v[80:81], v[28:29]
	v_fma_f64 v[7:8], v[8:9], v[70:71], v[10:11]
	v_mad_u64_u32 v[9:10], null, s0, v62, 0
	v_add_f64 v[66:67], v[80:81], -v[28:29]
	v_add_co_ci_u32_e32 v85, vcc_lo, s3, v47, vcc_lo
	v_mad_u64_u32 v[10:11], null, s1, v62, v[10:11]
	s_waitcnt lgkmcnt(1)
	v_add_f64 v[62:63], v[20:21], v[78:79]
	v_add_nc_u32_e32 v11, 0x48, v68
	s_waitcnt lgkmcnt(0)
	v_mul_f64 v[58:59], v[3:4], v[18:19]
	v_mul_f64 v[18:19], v[1:2], v[18:19]
	v_lshlrev_b64 v[9:10], 4, v[9:10]
	v_add_f64 v[46:47], v[62:63], v[82:83]
	v_fma_f64 v[0:1], v[1:2], v[16:17], -v[58:59]
	v_add_f64 v[58:59], v[78:79], v[82:83]
	v_fma_f64 v[2:3], v[3:4], v[16:17], v[18:19]
	v_add_f64 v[16:17], v[48:49], v[52:53]
	v_add_f64 v[18:19], v[30:31], v[50:51]
	v_mov_b32_e32 v4, v27
	v_mad_u64_u32 v[60:61], null, s1, v68, v[4:5]
	v_mov_b32_e32 v27, v60
	v_add_f64 v[60:61], v[22:23], v[80:81]
	v_fma_f64 v[22:23], v[56:57], -0.5, v[22:23]
	v_add_f64 v[56:57], v[30:31], -v[50:51]
	v_fma_f64 v[20:21], v[58:59], -0.5, v[20:21]
	v_add_f64 v[58:59], v[48:49], -v[52:53]
	v_fma_f64 v[16:17], v[16:17], -0.5, v[2:3]
	v_fma_f64 v[18:19], v[18:19], -0.5, v[0:1]
	v_add_f64 v[2:3], v[2:3], v[48:49]
	v_add_f64 v[0:1], v[0:1], v[30:31]
	v_mad_u64_u32 v[30:31], null, s0, v11, 0
	v_lshlrev_b64 v[26:27], 4, v[26:27]
	v_mov_b32_e32 v4, v31
	v_add_co_u32 v26, vcc_lo, v84, v26
	v_add_co_ci_u32_e32 v27, vcc_lo, v85, v27, vcc_lo
	v_add_f64 v[28:29], v[60:61], v[28:29]
	v_add_co_u32 v80, vcc_lo, v84, v9
	v_add_co_ci_u32_e32 v81, vcc_lo, v85, v10, vcc_lo
	v_fma_f64 v[48:49], v[56:57], s[12:13], v[16:17]
	v_fma_f64 v[16:17], v[56:57], s[10:11], v[16:17]
	;; [unrolled: 1-line block ×4, first 2 shown]
	v_mad_u64_u32 v[58:59], null, s1, v11, v[4:5]
	v_add_nc_u32_e32 v11, 0x6c, v68
	v_add_f64 v[2:3], v[2:3], v[52:53]
	v_add_f64 v[0:1], v[0:1], v[50:51]
	v_fma_f64 v[50:51], v[64:65], s[10:11], v[22:23]
	v_fma_f64 v[22:23], v[64:65], s[12:13], v[22:23]
	v_mad_u64_u32 v[62:63], null, s0, v11, 0
	v_mov_b32_e32 v31, v58
	v_fma_f64 v[64:65], v[66:67], s[10:11], v[20:21]
	v_fma_f64 v[20:21], v[66:67], s[12:13], v[20:21]
	v_lshlrev_b64 v[30:31], 4, v[30:31]
	v_mov_b32_e32 v4, v63
	v_add_nc_u32_e32 v63, 0xb4, v68
	v_mul_f64 v[60:61], v[48:49], s[10:11]
	v_mul_f64 v[52:53], v[16:17], -0.5
	v_mul_f64 v[58:59], v[56:57], s[12:13]
	v_mul_f64 v[66:67], v[18:19], -0.5
	v_add_f64 v[69:70], v[46:47], -v[0:1]
	v_add_f64 v[46:47], v[46:47], v[0:1]
	v_add_f64 v[0:1], v[28:29], -v[2:3]
	v_add_f64 v[28:29], v[28:29], v[2:3]
	v_mul_f64 v[2:3], v[72:73], v[42:43]
	v_fma_f64 v[56:57], v[56:57], 0.5, v[60:61]
	v_fma_f64 v[18:19], v[18:19], s[12:13], v[52:53]
	v_fma_f64 v[48:49], v[48:49], 0.5, v[58:59]
	v_mad_u64_u32 v[58:59], null, s1, v11, v[4:5]
	v_add_nc_u32_e32 v11, 0x90, v68
	v_mad_u64_u32 v[52:53], null, s0, v63, 0
	v_fma_f64 v[16:17], v[16:17], s[10:11], v[66:67]
	v_mad_u64_u32 v[59:60], null, s0, v11, 0
	v_fma_f64 v[2:3], v[40:41], v[76:77], v[2:3]
	v_mov_b32_e32 v4, v60
	v_mad_u64_u32 v[60:61], null, s1, v11, v[4:5]
	v_mov_b32_e32 v4, v53
	v_add_f64 v[78:79], v[22:23], v[48:49]
	v_add_f64 v[22:23], v[22:23], -v[48:49]
	v_add_f64 v[48:49], v[64:65], v[56:57]
	v_add_f64 v[56:57], v[64:65], -v[56:57]
	v_mad_u64_u32 v[66:67], null, s1, v63, v[4:5]
	v_mul_f64 v[67:68], v[74:75], v[14:15]
	v_add_f64 v[64:65], v[50:51], v[18:19]
	v_add_f64 v[50:51], v[50:51], -v[18:19]
	v_add_f64 v[18:19], v[20:21], v[16:17]
	v_add_f64 v[20:21], v[20:21], -v[16:17]
	v_mul_f64 v[14:15], v[24:25], v[14:15]
	v_mov_b32_e32 v63, v58
	v_mov_b32_e32 v53, v66
	v_lshlrev_b64 v[58:59], 4, v[59:60]
	v_lshlrev_b64 v[52:53], 4, v[52:53]
	v_fma_f64 v[16:17], v[12:13], v[24:25], v[67:68]
	v_mul_f64 v[24:25], v[76:77], v[42:43]
	v_lshlrev_b64 v[42:43], 4, v[62:63]
	v_mul_f64 v[61:62], v[48:49], v[2:3]
	v_mul_f64 v[66:67], v[78:79], v[2:3]
	v_fma_f64 v[12:13], v[12:13], v[74:75], -v[14:15]
	v_mul_f64 v[75:76], v[20:21], v[36:37]
	v_mul_f64 v[36:37], v[50:51], v[36:37]
	v_fma_f64 v[14:15], v[40:41], v[72:73], -v[24:25]
	v_mul_f64 v[24:25], v[69:70], v[7:8]
	v_mul_f64 v[7:8], v[0:1], v[7:8]
	;; [unrolled: 1-line block ×8, first 2 shown]
	v_fma_f64 v[20:21], v[20:21], v[38:39], -v[36:37]
	v_fma_f64 v[10:11], v[78:79], v[14:15], v[61:62]
	v_fma_f64 v[2:3], v[0:1], v[5:6], v[24:25]
	v_fma_f64 v[0:1], v[69:70], v[5:6], -v[7:8]
	v_fma_f64 v[6:7], v[28:29], v[34:35], v[40:41]
	v_fma_f64 v[4:5], v[46:47], v[34:35], -v[32:33]
	v_fma_f64 v[8:9], v[48:49], v[14:15], -v[66:67]
	v_fma_f64 v[14:15], v[64:65], v[12:13], v[71:72]
	v_fma_f64 v[12:13], v[18:19], v[12:13], -v[16:17]
	v_fma_f64 v[18:19], v[22:23], v[54:55], v[73:74]
	;; [unrolled: 2-line block ×3, first 2 shown]
	v_add_co_u32 v24, vcc_lo, v84, v30
	v_add_co_ci_u32_e32 v25, vcc_lo, v85, v31, vcc_lo
	v_add_co_u32 v28, vcc_lo, v84, v42
	v_add_co_ci_u32_e32 v29, vcc_lo, v85, v43, vcc_lo
	;; [unrolled: 2-line block ×4, first 2 shown]
	global_store_dwordx4 v[26:27], v[4:7], off
	global_store_dwordx4 v[80:81], v[8:11], off
	;; [unrolled: 1-line block ×6, first 2 shown]
.LBB0_18:
	s_endpgm
	.section	.rodata,"a",@progbits
	.p2align	6, 0x0
	.amdhsa_kernel fft_rtc_fwd_len216_factors_6_6_6_wgs_324_tpt_36_dp_ip_CI_sbcc_twdbase6_3step_dirReg
		.amdhsa_group_segment_fixed_size 0
		.amdhsa_private_segment_fixed_size 0
		.amdhsa_kernarg_size 96
		.amdhsa_user_sgpr_count 6
		.amdhsa_user_sgpr_private_segment_buffer 1
		.amdhsa_user_sgpr_dispatch_ptr 0
		.amdhsa_user_sgpr_queue_ptr 0
		.amdhsa_user_sgpr_kernarg_segment_ptr 1
		.amdhsa_user_sgpr_dispatch_id 0
		.amdhsa_user_sgpr_flat_scratch_init 0
		.amdhsa_user_sgpr_private_segment_size 0
		.amdhsa_wavefront_size32 1
		.amdhsa_uses_dynamic_stack 0
		.amdhsa_system_sgpr_private_segment_wavefront_offset 0
		.amdhsa_system_sgpr_workgroup_id_x 1
		.amdhsa_system_sgpr_workgroup_id_y 0
		.amdhsa_system_sgpr_workgroup_id_z 0
		.amdhsa_system_sgpr_workgroup_info 0
		.amdhsa_system_vgpr_workitem_id 0
		.amdhsa_next_free_vgpr 86
		.amdhsa_next_free_sgpr 44
		.amdhsa_reserve_vcc 1
		.amdhsa_reserve_flat_scratch 0
		.amdhsa_float_round_mode_32 0
		.amdhsa_float_round_mode_16_64 0
		.amdhsa_float_denorm_mode_32 3
		.amdhsa_float_denorm_mode_16_64 3
		.amdhsa_dx10_clamp 1
		.amdhsa_ieee_mode 1
		.amdhsa_fp16_overflow 0
		.amdhsa_workgroup_processor_mode 1
		.amdhsa_memory_ordered 1
		.amdhsa_forward_progress 0
		.amdhsa_shared_vgpr_count 0
		.amdhsa_exception_fp_ieee_invalid_op 0
		.amdhsa_exception_fp_denorm_src 0
		.amdhsa_exception_fp_ieee_div_zero 0
		.amdhsa_exception_fp_ieee_overflow 0
		.amdhsa_exception_fp_ieee_underflow 0
		.amdhsa_exception_fp_ieee_inexact 0
		.amdhsa_exception_int_div_zero 0
	.end_amdhsa_kernel
	.text
.Lfunc_end0:
	.size	fft_rtc_fwd_len216_factors_6_6_6_wgs_324_tpt_36_dp_ip_CI_sbcc_twdbase6_3step_dirReg, .Lfunc_end0-fft_rtc_fwd_len216_factors_6_6_6_wgs_324_tpt_36_dp_ip_CI_sbcc_twdbase6_3step_dirReg
                                        ; -- End function
	.section	.AMDGPU.csdata,"",@progbits
; Kernel info:
; codeLenInByte = 5532
; NumSgprs: 46
; NumVgprs: 86
; ScratchSize: 0
; MemoryBound: 1
; FloatMode: 240
; IeeeMode: 1
; LDSByteSize: 0 bytes/workgroup (compile time only)
; SGPRBlocks: 5
; VGPRBlocks: 10
; NumSGPRsForWavesPerEU: 46
; NumVGPRsForWavesPerEU: 86
; Occupancy: 10
; WaveLimiterHint : 1
; COMPUTE_PGM_RSRC2:SCRATCH_EN: 0
; COMPUTE_PGM_RSRC2:USER_SGPR: 6
; COMPUTE_PGM_RSRC2:TRAP_HANDLER: 0
; COMPUTE_PGM_RSRC2:TGID_X_EN: 1
; COMPUTE_PGM_RSRC2:TGID_Y_EN: 0
; COMPUTE_PGM_RSRC2:TGID_Z_EN: 0
; COMPUTE_PGM_RSRC2:TIDIG_COMP_CNT: 0
	.text
	.p2alignl 6, 3214868480
	.fill 48, 4, 3214868480
	.type	__hip_cuid_eb0424d698314bd,@object ; @__hip_cuid_eb0424d698314bd
	.section	.bss,"aw",@nobits
	.globl	__hip_cuid_eb0424d698314bd
__hip_cuid_eb0424d698314bd:
	.byte	0                               ; 0x0
	.size	__hip_cuid_eb0424d698314bd, 1

	.ident	"AMD clang version 19.0.0git (https://github.com/RadeonOpenCompute/llvm-project roc-6.4.0 25133 c7fe45cf4b819c5991fe208aaa96edf142730f1d)"
	.section	".note.GNU-stack","",@progbits
	.addrsig
	.addrsig_sym __hip_cuid_eb0424d698314bd
	.amdgpu_metadata
---
amdhsa.kernels:
  - .args:
      - .actual_access:  read_only
        .address_space:  global
        .offset:         0
        .size:           8
        .value_kind:     global_buffer
      - .address_space:  global
        .offset:         8
        .size:           8
        .value_kind:     global_buffer
      - .offset:         16
        .size:           8
        .value_kind:     by_value
      - .actual_access:  read_only
        .address_space:  global
        .offset:         24
        .size:           8
        .value_kind:     global_buffer
      - .actual_access:  read_only
        .address_space:  global
        .offset:         32
        .size:           8
        .value_kind:     global_buffer
      - .offset:         40
        .size:           8
        .value_kind:     by_value
      - .actual_access:  read_only
        .address_space:  global
        .offset:         48
        .size:           8
        .value_kind:     global_buffer
      - .actual_access:  read_only
        .address_space:  global
        .offset:         56
        .size:           8
        .value_kind:     global_buffer
      - .offset:         64
        .size:           4
        .value_kind:     by_value
      - .actual_access:  read_only
        .address_space:  global
        .offset:         72
        .size:           8
        .value_kind:     global_buffer
      - .actual_access:  read_only
        .address_space:  global
        .offset:         80
        .size:           8
        .value_kind:     global_buffer
      - .address_space:  global
        .offset:         88
        .size:           8
        .value_kind:     global_buffer
    .group_segment_fixed_size: 0
    .kernarg_segment_align: 8
    .kernarg_segment_size: 96
    .language:       OpenCL C
    .language_version:
      - 2
      - 0
    .max_flat_workgroup_size: 324
    .name:           fft_rtc_fwd_len216_factors_6_6_6_wgs_324_tpt_36_dp_ip_CI_sbcc_twdbase6_3step_dirReg
    .private_segment_fixed_size: 0
    .sgpr_count:     46
    .sgpr_spill_count: 0
    .symbol:         fft_rtc_fwd_len216_factors_6_6_6_wgs_324_tpt_36_dp_ip_CI_sbcc_twdbase6_3step_dirReg.kd
    .uniform_work_group_size: 1
    .uses_dynamic_stack: false
    .vgpr_count:     86
    .vgpr_spill_count: 0
    .wavefront_size: 32
    .workgroup_processor_mode: 1
amdhsa.target:   amdgcn-amd-amdhsa--gfx1030
amdhsa.version:
  - 1
  - 2
...

	.end_amdgpu_metadata
